;; amdgpu-corpus repo=ROCm/rocFFT kind=compiled arch=gfx906 opt=O3
	.text
	.amdgcn_target "amdgcn-amd-amdhsa--gfx906"
	.amdhsa_code_object_version 6
	.protected	fft_rtc_back_len90_factors_3_3_10_wgs_63_tpt_9_halfLds_dp_ip_CI_sbrr_dirReg ; -- Begin function fft_rtc_back_len90_factors_3_3_10_wgs_63_tpt_9_halfLds_dp_ip_CI_sbrr_dirReg
	.globl	fft_rtc_back_len90_factors_3_3_10_wgs_63_tpt_9_halfLds_dp_ip_CI_sbrr_dirReg
	.p2align	8
	.type	fft_rtc_back_len90_factors_3_3_10_wgs_63_tpt_9_halfLds_dp_ip_CI_sbrr_dirReg,@function
fft_rtc_back_len90_factors_3_3_10_wgs_63_tpt_9_halfLds_dp_ip_CI_sbrr_dirReg: ; @fft_rtc_back_len90_factors_3_3_10_wgs_63_tpt_9_halfLds_dp_ip_CI_sbrr_dirReg
; %bb.0:
	s_load_dwordx2 s[14:15], s[4:5], 0x18
	s_load_dwordx4 s[8:11], s[4:5], 0x0
	s_load_dwordx2 s[12:13], s[4:5], 0x50
	v_mul_u32_u24_e32 v1, 0x1c72, v0
	v_lshrrev_b32_e32 v1, 16, v1
	s_waitcnt lgkmcnt(0)
	s_load_dwordx2 s[2:3], s[14:15], 0x0
	v_mad_u64_u32 v[1:2], s[0:1], s6, 7, v[1:2]
	v_mov_b32_e32 v5, 0
	v_cmp_lt_u64_e64 s[0:1], s[10:11], 2
	v_mov_b32_e32 v2, v5
	v_mov_b32_e32 v3, 0
	;; [unrolled: 1-line block ×3, first 2 shown]
	s_and_b64 vcc, exec, s[0:1]
	v_mov_b32_e32 v4, 0
	v_mov_b32_e32 v9, v1
	s_cbranch_vccnz .LBB0_8
; %bb.1:
	s_load_dwordx2 s[0:1], s[4:5], 0x10
	s_add_u32 s6, s14, 8
	s_addc_u32 s7, s15, 0
	v_mov_b32_e32 v3, 0
	v_mov_b32_e32 v8, v2
	s_waitcnt lgkmcnt(0)
	s_add_u32 s18, s0, 8
	s_mov_b64 s[16:17], 1
	v_mov_b32_e32 v4, 0
	s_addc_u32 s19, s1, 0
	v_mov_b32_e32 v7, v1
.LBB0_2:                                ; =>This Inner Loop Header: Depth=1
	s_load_dwordx2 s[20:21], s[18:19], 0x0
                                        ; implicit-def: $vgpr9_vgpr10
	s_waitcnt lgkmcnt(0)
	v_or_b32_e32 v6, s21, v8
	v_cmp_ne_u64_e32 vcc, 0, v[5:6]
	s_and_saveexec_b64 s[0:1], vcc
	s_xor_b64 s[22:23], exec, s[0:1]
	s_cbranch_execz .LBB0_4
; %bb.3:                                ;   in Loop: Header=BB0_2 Depth=1
	v_cvt_f32_u32_e32 v2, s20
	v_cvt_f32_u32_e32 v6, s21
	s_sub_u32 s0, 0, s20
	s_subb_u32 s1, 0, s21
	v_mac_f32_e32 v2, 0x4f800000, v6
	v_rcp_f32_e32 v2, v2
	v_mul_f32_e32 v2, 0x5f7ffffc, v2
	v_mul_f32_e32 v6, 0x2f800000, v2
	v_trunc_f32_e32 v6, v6
	v_mac_f32_e32 v2, 0xcf800000, v6
	v_cvt_u32_f32_e32 v6, v6
	v_cvt_u32_f32_e32 v2, v2
	v_mul_lo_u32 v9, s0, v6
	v_mul_hi_u32 v10, s0, v2
	v_mul_lo_u32 v12, s1, v2
	v_mul_lo_u32 v11, s0, v2
	v_add_u32_e32 v9, v10, v9
	v_add_u32_e32 v9, v9, v12
	v_mul_hi_u32 v10, v2, v11
	v_mul_lo_u32 v12, v2, v9
	v_mul_hi_u32 v14, v2, v9
	v_mul_hi_u32 v13, v6, v11
	v_mul_lo_u32 v11, v6, v11
	v_mul_hi_u32 v15, v6, v9
	v_add_co_u32_e32 v10, vcc, v10, v12
	v_addc_co_u32_e32 v12, vcc, 0, v14, vcc
	v_mul_lo_u32 v9, v6, v9
	v_add_co_u32_e32 v10, vcc, v10, v11
	v_addc_co_u32_e32 v10, vcc, v12, v13, vcc
	v_addc_co_u32_e32 v11, vcc, 0, v15, vcc
	v_add_co_u32_e32 v9, vcc, v10, v9
	v_addc_co_u32_e32 v10, vcc, 0, v11, vcc
	v_add_co_u32_e32 v2, vcc, v2, v9
	v_addc_co_u32_e32 v6, vcc, v6, v10, vcc
	v_mul_lo_u32 v9, s0, v6
	v_mul_hi_u32 v10, s0, v2
	v_mul_lo_u32 v11, s1, v2
	v_mul_lo_u32 v12, s0, v2
	v_add_u32_e32 v9, v10, v9
	v_add_u32_e32 v9, v9, v11
	v_mul_lo_u32 v13, v2, v9
	v_mul_hi_u32 v14, v2, v12
	v_mul_hi_u32 v15, v2, v9
	;; [unrolled: 1-line block ×3, first 2 shown]
	v_mul_lo_u32 v12, v6, v12
	v_mul_hi_u32 v10, v6, v9
	v_add_co_u32_e32 v13, vcc, v14, v13
	v_addc_co_u32_e32 v14, vcc, 0, v15, vcc
	v_mul_lo_u32 v9, v6, v9
	v_add_co_u32_e32 v12, vcc, v13, v12
	v_addc_co_u32_e32 v11, vcc, v14, v11, vcc
	v_addc_co_u32_e32 v10, vcc, 0, v10, vcc
	v_add_co_u32_e32 v9, vcc, v11, v9
	v_addc_co_u32_e32 v10, vcc, 0, v10, vcc
	v_add_co_u32_e32 v2, vcc, v2, v9
	v_addc_co_u32_e32 v6, vcc, v6, v10, vcc
	v_mad_u64_u32 v[9:10], s[0:1], v7, v6, 0
	v_mul_hi_u32 v11, v7, v2
	v_add_co_u32_e32 v13, vcc, v11, v9
	v_addc_co_u32_e32 v14, vcc, 0, v10, vcc
	v_mad_u64_u32 v[9:10], s[0:1], v8, v2, 0
	v_mad_u64_u32 v[11:12], s[0:1], v8, v6, 0
	v_add_co_u32_e32 v2, vcc, v13, v9
	v_addc_co_u32_e32 v2, vcc, v14, v10, vcc
	v_addc_co_u32_e32 v6, vcc, 0, v12, vcc
	v_add_co_u32_e32 v2, vcc, v2, v11
	v_addc_co_u32_e32 v6, vcc, 0, v6, vcc
	v_mul_lo_u32 v11, s21, v2
	v_mul_lo_u32 v12, s20, v6
	v_mad_u64_u32 v[9:10], s[0:1], s20, v2, 0
	v_add3_u32 v10, v10, v12, v11
	v_sub_u32_e32 v11, v8, v10
	v_mov_b32_e32 v12, s21
	v_sub_co_u32_e32 v9, vcc, v7, v9
	v_subb_co_u32_e64 v11, s[0:1], v11, v12, vcc
	v_subrev_co_u32_e64 v12, s[0:1], s20, v9
	v_subbrev_co_u32_e64 v11, s[0:1], 0, v11, s[0:1]
	v_cmp_le_u32_e64 s[0:1], s21, v11
	v_cndmask_b32_e64 v13, 0, -1, s[0:1]
	v_cmp_le_u32_e64 s[0:1], s20, v12
	v_cndmask_b32_e64 v12, 0, -1, s[0:1]
	v_cmp_eq_u32_e64 s[0:1], s21, v11
	v_cndmask_b32_e64 v11, v13, v12, s[0:1]
	v_add_co_u32_e64 v12, s[0:1], 2, v2
	v_addc_co_u32_e64 v13, s[0:1], 0, v6, s[0:1]
	v_add_co_u32_e64 v14, s[0:1], 1, v2
	v_addc_co_u32_e64 v15, s[0:1], 0, v6, s[0:1]
	v_subb_co_u32_e32 v10, vcc, v8, v10, vcc
	v_cmp_ne_u32_e64 s[0:1], 0, v11
	v_cmp_le_u32_e32 vcc, s21, v10
	v_cndmask_b32_e64 v11, v15, v13, s[0:1]
	v_cndmask_b32_e64 v13, 0, -1, vcc
	v_cmp_le_u32_e32 vcc, s20, v9
	v_cndmask_b32_e64 v9, 0, -1, vcc
	v_cmp_eq_u32_e32 vcc, s21, v10
	v_cndmask_b32_e32 v9, v13, v9, vcc
	v_cmp_ne_u32_e32 vcc, 0, v9
	v_cndmask_b32_e32 v10, v6, v11, vcc
	v_cndmask_b32_e64 v6, v14, v12, s[0:1]
	v_cndmask_b32_e32 v9, v2, v6, vcc
.LBB0_4:                                ;   in Loop: Header=BB0_2 Depth=1
	s_andn2_saveexec_b64 s[0:1], s[22:23]
	s_cbranch_execz .LBB0_6
; %bb.5:                                ;   in Loop: Header=BB0_2 Depth=1
	v_cvt_f32_u32_e32 v2, s20
	s_sub_i32 s22, 0, s20
	v_rcp_iflag_f32_e32 v2, v2
	v_mul_f32_e32 v2, 0x4f7ffffe, v2
	v_cvt_u32_f32_e32 v2, v2
	v_mul_lo_u32 v6, s22, v2
	v_mul_hi_u32 v6, v2, v6
	v_add_u32_e32 v2, v2, v6
	v_mul_hi_u32 v2, v7, v2
	v_mul_lo_u32 v6, v2, s20
	v_add_u32_e32 v9, 1, v2
	v_sub_u32_e32 v6, v7, v6
	v_subrev_u32_e32 v10, s20, v6
	v_cmp_le_u32_e32 vcc, s20, v6
	v_cndmask_b32_e32 v6, v6, v10, vcc
	v_cndmask_b32_e32 v2, v2, v9, vcc
	v_add_u32_e32 v9, 1, v2
	v_cmp_le_u32_e32 vcc, s20, v6
	v_cndmask_b32_e32 v9, v2, v9, vcc
	v_mov_b32_e32 v10, v5
.LBB0_6:                                ;   in Loop: Header=BB0_2 Depth=1
	s_or_b64 exec, exec, s[0:1]
	v_mul_lo_u32 v2, v10, s20
	v_mul_lo_u32 v6, v9, s21
	v_mad_u64_u32 v[11:12], s[0:1], v9, s20, 0
	s_load_dwordx2 s[0:1], s[6:7], 0x0
	s_add_u32 s16, s16, 1
	v_add3_u32 v2, v12, v6, v2
	v_sub_co_u32_e32 v6, vcc, v7, v11
	v_subb_co_u32_e32 v2, vcc, v8, v2, vcc
	s_waitcnt lgkmcnt(0)
	v_mul_lo_u32 v2, s0, v2
	v_mul_lo_u32 v7, s1, v6
	v_mad_u64_u32 v[3:4], s[0:1], s0, v6, v[3:4]
	s_addc_u32 s17, s17, 0
	s_add_u32 s6, s6, 8
	v_add3_u32 v4, v7, v4, v2
	v_mov_b32_e32 v6, s10
	v_mov_b32_e32 v7, s11
	s_addc_u32 s7, s7, 0
	v_cmp_ge_u64_e32 vcc, s[16:17], v[6:7]
	s_add_u32 s18, s18, 8
	s_addc_u32 s19, s19, 0
	s_cbranch_vccnz .LBB0_8
; %bb.7:                                ;   in Loop: Header=BB0_2 Depth=1
	v_mov_b32_e32 v7, v9
	v_mov_b32_e32 v8, v10
	s_branch .LBB0_2
.LBB0_8:
	s_lshl_b64 s[0:1], s[10:11], 3
	s_add_u32 s0, s14, s0
	s_addc_u32 s1, s15, s1
	s_load_dwordx2 s[6:7], s[0:1], 0x0
	s_load_dwordx2 s[10:11], s[4:5], 0x20
	s_waitcnt lgkmcnt(0)
	v_mad_u64_u32 v[2:3], s[0:1], s6, v9, v[3:4]
	s_mov_b32 s0, 0x1c71c71d
	v_mul_hi_u32 v4, v0, s0
	v_mul_lo_u32 v5, s6, v10
	v_mul_lo_u32 v6, s7, v9
	v_cmp_gt_u64_e32 vcc, s[10:11], v[9:10]
	v_mul_u32_u24_e32 v4, 9, v4
	v_cmp_le_u64_e64 s[0:1], s[10:11], v[9:10]
	v_sub_u32_e32 v73, v0, v4
	v_add3_u32 v3, v6, v3, v5
	v_add_u32_e32 v77, 9, v73
	v_add_u32_e32 v74, 18, v73
                                        ; implicit-def: $sgpr6
	s_and_saveexec_b64 s[4:5], s[0:1]
	s_xor_b64 s[0:1], exec, s[4:5]
; %bb.9:
	v_add_u32_e32 v77, 9, v73
	v_add_u32_e32 v74, 18, v73
	s_mov_b32 s6, 0
; %bb.10:
	s_or_saveexec_b64 s[4:5], s[0:1]
	v_lshlrev_b64 v[64:65], 4, v[2:3]
	v_mov_b32_e32 v72, s6
                                        ; implicit-def: $vgpr50_vgpr51
                                        ; implicit-def: $vgpr46_vgpr47
                                        ; implicit-def: $vgpr42_vgpr43
                                        ; implicit-def: $vgpr6_vgpr7
                                        ; implicit-def: $vgpr14_vgpr15
                                        ; implicit-def: $vgpr18_vgpr19
                                        ; implicit-def: $vgpr10_vgpr11
                                        ; implicit-def: $vgpr30_vgpr31
                                        ; implicit-def: $vgpr22_vgpr23
                                        ; implicit-def: $vgpr26_vgpr27
                                        ; implicit-def: $vgpr38_vgpr39
                                        ; implicit-def: $vgpr34_vgpr35
	s_xor_b64 exec, exec, s[4:5]
	s_cbranch_execz .LBB0_14
; %bb.11:
	v_mad_u64_u32 v[3:4], s[0:1], s2, v73, 0
	v_add_u32_e32 v7, 30, v73
	v_mov_b32_e32 v2, s13
	v_mov_b32_e32 v0, v4
	v_mad_u64_u32 v[4:5], s[0:1], s3, v73, v[0:1]
	v_mad_u64_u32 v[5:6], s[0:1], s2, v7, 0
	v_add_co_u32_e64 v0, s[0:1], s12, v64
	v_addc_co_u32_e64 v2, s[0:1], v2, v65, s[0:1]
	v_mad_u64_u32 v[6:7], s[0:1], s3, v7, v[6:7]
	v_add_u32_e32 v9, 60, v73
	v_mad_u64_u32 v[7:8], s[0:1], s2, v9, 0
	v_lshlrev_b64 v[3:4], 4, v[3:4]
	v_add_co_u32_e64 v40, s[0:1], v0, v3
	v_addc_co_u32_e64 v41, s[0:1], v2, v4, s[0:1]
	v_lshlrev_b64 v[3:4], 4, v[5:6]
	v_mov_b32_e32 v5, v8
	v_mad_u64_u32 v[5:6], s[0:1], s3, v9, v[5:6]
	v_mad_u64_u32 v[9:10], s[0:1], s2, v77, 0
	v_add_co_u32_e64 v42, s[0:1], v0, v3
	v_mov_b32_e32 v8, v5
	v_mov_b32_e32 v5, v10
	v_addc_co_u32_e64 v43, s[0:1], v2, v4, s[0:1]
	v_lshlrev_b64 v[3:4], 4, v[7:8]
	v_mad_u64_u32 v[5:6], s[0:1], s3, v77, v[5:6]
	v_add_u32_e32 v8, 39, v73
	v_mad_u64_u32 v[6:7], s[0:1], s2, v8, 0
	v_add_co_u32_e64 v44, s[0:1], v0, v3
	v_mov_b32_e32 v10, v5
	v_mov_b32_e32 v5, v7
	v_addc_co_u32_e64 v45, s[0:1], v2, v4, s[0:1]
	v_lshlrev_b64 v[3:4], 4, v[9:10]
	v_mad_u64_u32 v[7:8], s[0:1], s3, v8, v[5:6]
	v_add_u32_e32 v10, 0x45, v73
	v_mad_u64_u32 v[8:9], s[0:1], s2, v10, 0
	v_add_co_u32_e64 v46, s[0:1], v0, v3
	v_mov_b32_e32 v5, v9
	v_addc_co_u32_e64 v47, s[0:1], v2, v4, s[0:1]
	v_lshlrev_b64 v[3:4], 4, v[6:7]
	v_mad_u64_u32 v[5:6], s[0:1], s3, v10, v[5:6]
	v_mad_u64_u32 v[6:7], s[0:1], s2, v74, 0
	v_add_co_u32_e64 v48, s[0:1], v0, v3
	v_mov_b32_e32 v9, v5
	v_mov_b32_e32 v5, v7
	v_addc_co_u32_e64 v49, s[0:1], v2, v4, s[0:1]
	v_lshlrev_b64 v[3:4], 4, v[8:9]
	v_mad_u64_u32 v[7:8], s[0:1], s3, v74, v[5:6]
	v_or_b32_e32 v10, 48, v73
	v_mad_u64_u32 v[8:9], s[0:1], s2, v10, 0
	v_add_co_u32_e64 v50, s[0:1], v0, v3
	v_mov_b32_e32 v5, v9
	v_addc_co_u32_e64 v51, s[0:1], v2, v4, s[0:1]
	v_lshlrev_b64 v[3:4], 4, v[6:7]
	v_mad_u64_u32 v[5:6], s[0:1], s3, v10, v[5:6]
	v_add_u32_e32 v10, 0x4e, v73
	v_mad_u64_u32 v[6:7], s[0:1], s2, v10, 0
	v_add_co_u32_e64 v52, s[0:1], v0, v3
	v_mov_b32_e32 v9, v5
	v_mov_b32_e32 v5, v7
	v_addc_co_u32_e64 v53, s[0:1], v2, v4, s[0:1]
	v_lshlrev_b64 v[3:4], 4, v[8:9]
	v_mad_u64_u32 v[7:8], s[0:1], s3, v10, v[5:6]
	v_add_co_u32_e64 v54, s[0:1], v0, v3
	v_addc_co_u32_e64 v55, s[0:1], v2, v4, s[0:1]
	v_lshlrev_b64 v[3:4], 4, v[6:7]
	v_add_co_u32_e64 v56, s[0:1], v0, v3
	v_addc_co_u32_e64 v57, s[0:1], v2, v4, s[0:1]
	global_load_dwordx4 v[32:35], v[40:41], off
	global_load_dwordx4 v[36:39], v[42:43], off
	;; [unrolled: 1-line block ×9, first 2 shown]
	v_cmp_gt_u32_e64 s[0:1], 3, v73
                                        ; implicit-def: $vgpr40_vgpr41
                                        ; implicit-def: $vgpr44_vgpr45
                                        ; implicit-def: $vgpr48_vgpr49
	s_and_saveexec_b64 s[6:7], s[0:1]
	s_cbranch_execz .LBB0_13
; %bb.12:
	v_add_u32_e32 v44, 27, v73
	v_mad_u64_u32 v[40:41], s[0:1], s2, v44, 0
	v_add_u32_e32 v46, 57, v73
	v_mad_u64_u32 v[42:43], s[0:1], s2, v46, 0
	v_mov_b32_e32 v3, v41
	s_waitcnt vmcnt(0)
	v_mad_u64_u32 v[44:45], s[0:1], s3, v44, v[3:4]
	v_mov_b32_e32 v3, v43
	v_mov_b32_e32 v41, v44
	v_mad_u64_u32 v[43:44], s[0:1], s3, v46, v[3:4]
	v_add_u32_e32 v44, 0x57, v73
	v_mad_u64_u32 v[48:49], s[0:1], s2, v44, 0
	v_lshlrev_b64 v[40:41], 4, v[40:41]
	v_add_co_u32_e64 v50, s[0:1], v0, v40
	v_mov_b32_e32 v3, v49
	v_addc_co_u32_e64 v51, s[0:1], v2, v41, s[0:1]
	v_mad_u64_u32 v[52:53], s[0:1], s3, v44, v[3:4]
	v_lshlrev_b64 v[40:41], 4, v[42:43]
	v_mov_b32_e32 v49, v52
	v_add_co_u32_e64 v53, s[0:1], v0, v40
	v_lshlrev_b64 v[48:49], 4, v[48:49]
	v_addc_co_u32_e64 v54, s[0:1], v2, v41, s[0:1]
	v_add_co_u32_e64 v48, s[0:1], v0, v48
	v_addc_co_u32_e64 v49, s[0:1], v2, v49, s[0:1]
	global_load_dwordx4 v[40:43], v[50:51], off
	global_load_dwordx4 v[44:47], v[53:54], off
	s_nop 0
	global_load_dwordx4 v[48:51], v[48:49], off
.LBB0_13:
	s_or_b64 exec, exec, s[6:7]
	v_mov_b32_e32 v72, v73
.LBB0_14:
	s_or_b64 exec, exec, s[4:5]
	s_waitcnt vmcnt(6)
	v_add_f64 v[2:3], v[24:25], v[36:37]
	s_mov_b32 s0, 0x24924925
	v_mul_hi_u32 v0, v1, s0
	v_add_f64 v[52:53], v[36:37], v[32:33]
	v_add_f64 v[54:55], v[38:39], -v[26:27]
	s_mov_b32 s0, 0xe8584caa
	v_sub_u32_e32 v56, v1, v0
	v_lshrrev_b32_e32 v56, 1, v56
	v_fma_f64 v[2:3], v[2:3], -0.5, v[32:33]
	v_add_u32_e32 v0, v56, v0
	v_lshrrev_b32_e32 v0, 2, v0
	v_mul_lo_u32 v0, v0, 7
	s_mov_b32 s1, 0xbfebb67a
	s_mov_b32 s5, 0x3febb67a
	;; [unrolled: 1-line block ×3, first 2 shown]
	v_sub_u32_e32 v0, v1, v0
	v_add_f64 v[56:57], v[24:25], v[52:53]
	v_mul_u32_u24_e32 v52, 0x5a, v0
	v_fma_f64 v[0:1], v[54:55], s[0:1], v[2:3]
	v_fma_f64 v[2:3], v[54:55], s[4:5], v[2:3]
	v_mad_u32_u24 v33, v73, 24, 0
	v_lshlrev_b32_e32 v79, 3, v52
	v_add_u32_e32 v32, v33, v79
	s_waitcnt vmcnt(3)
	v_add_f64 v[58:59], v[8:9], v[28:29]
	v_add_f64 v[53:54], v[28:29], v[20:21]
	s_waitcnt vmcnt(0)
	v_add_f64 v[61:62], v[14:15], -v[6:7]
	ds_write2_b64 v32, v[56:57], v[0:1] offset1:1
	v_add_f64 v[0:1], v[4:5], v[12:13]
	ds_write_b64 v32, v[2:3] offset:16
	v_add_f64 v[2:3], v[48:49], v[44:45]
	v_fma_f64 v[55:56], v[58:59], -0.5, v[20:21]
	v_add_f64 v[57:58], v[30:31], -v[10:11]
	v_add_f64 v[59:60], v[12:13], v[16:17]
	v_add_f64 v[53:54], v[8:9], v[53:54]
	v_fma_f64 v[0:1], v[0:1], -0.5, v[16:17]
	v_mad_i32_i24 v20, v77, 24, 0
	v_fma_f64 v[66:67], v[2:3], -0.5, v[40:41]
	v_add_f64 v[2:3], v[44:45], v[40:41]
	v_add_f64 v[40:41], v[46:47], -v[50:51]
	v_fma_f64 v[70:71], v[57:58], s[0:1], v[55:56]
	v_fma_f64 v[55:56], v[57:58], s[4:5], v[55:56]
	v_add_f64 v[57:58], v[4:5], v[59:60]
	v_fma_f64 v[59:60], v[61:62], s[0:1], v[0:1]
	v_fma_f64 v[61:62], v[61:62], s[4:5], v[0:1]
	v_mad_i32_i24 v21, v74, 24, 0
	v_add_f64 v[0:1], v[48:49], v[2:3]
	v_fma_f64 v[2:3], v[40:41], s[0:1], v[66:67]
	v_fma_f64 v[68:69], v[40:41], s[4:5], v[66:67]
	v_add_u32_e32 v16, v20, v79
	v_add_u32_e32 v17, v21, v79
	v_cmp_gt_u32_e64 s[0:1], 3, v73
	ds_write2_b64 v16, v[53:54], v[70:71] offset1:1
	ds_write_b64 v16, v[55:56] offset:16
	ds_write2_b64 v17, v[57:58], v[59:60] offset1:1
	ds_write_b64 v17, v[61:62] offset:16
	s_and_saveexec_b64 s[4:5], s[0:1]
	s_cbranch_execz .LBB0_16
; %bb.15:
	v_lshl_add_u32 v40, v52, 3, v33
	ds_write2_b64 v40, v[0:1], v[2:3] offset0:81 offset1:82
	ds_write_b64 v40, v[68:69] offset:664
.LBB0_16:
	s_or_b64 exec, exec, s[4:5]
	v_lshlrev_b32_e32 v40, 4, v73
	v_sub_u32_e32 v33, v33, v40
	v_lshlrev_b32_e32 v40, 4, v77
	v_sub_u32_e32 v20, v20, v40
	v_lshlrev_b32_e32 v80, 3, v73
	v_add_u32_e32 v76, v20, v79
	v_lshlrev_b32_e32 v20, 4, v74
	v_add3_u32 v75, 0, v79, v80
	v_add_u32_e32 v33, v33, v79
	v_sub_u32_e32 v20, v21, v20
	s_waitcnt lgkmcnt(0)
	; wave barrier
	s_waitcnt lgkmcnt(0)
	ds_read2_b64 v[60:63], v33 offset0:30 offset1:39
	ds_read2_b64 v[52:55], v33 offset0:48 offset1:60
	;; [unrolled: 1-line block ×3, first 2 shown]
	v_add_u32_e32 v78, v20, v79
	ds_read_b64 v[70:71], v75
	ds_read_b64 v[66:67], v76
	;; [unrolled: 1-line block ×3, first 2 shown]
	s_and_saveexec_b64 s[4:5], s[0:1]
	s_cbranch_execz .LBB0_18
; %bb.17:
	ds_read2_b64 v[0:3], v33 offset0:27 offset1:57
	ds_read_b64 v[68:69], v33 offset:696
.LBB0_18:
	s_or_b64 exec, exec, s[4:5]
	v_add_f64 v[20:21], v[26:27], v[38:39]
	v_add_f64 v[38:39], v[38:39], v[34:35]
	v_add_f64 v[24:25], v[36:37], -v[24:25]
	v_add_f64 v[36:37], v[10:11], v[30:31]
	v_add_f64 v[8:9], v[28:29], -v[8:9]
	v_add_f64 v[28:29], v[6:7], v[14:15]
	s_mov_b32 s4, 0xe8584caa
	s_mov_b32 s5, 0x3febb67a
	v_fma_f64 v[20:21], v[20:21], -0.5, v[34:35]
	v_add_f64 v[34:35], v[50:51], v[46:47]
	s_mov_b32 s7, 0xbfebb67a
	s_mov_b32 s6, s4
	v_add_f64 v[30:31], v[30:31], v[22:23]
	v_fma_f64 v[22:23], v[36:37], -0.5, v[22:23]
	v_add_f64 v[14:15], v[14:15], v[18:19]
	v_fma_f64 v[18:19], v[28:29], -0.5, v[18:19]
	v_fma_f64 v[36:37], v[24:25], s[4:5], v[20:21]
	v_fma_f64 v[20:21], v[24:25], s[6:7], v[20:21]
	v_add_f64 v[4:5], v[12:13], -v[4:5]
	v_add_f64 v[12:13], v[46:47], v[42:43]
	v_fma_f64 v[24:25], v[34:35], -0.5, v[42:43]
	v_add_f64 v[28:29], v[44:45], -v[48:49]
	v_add_f64 v[26:27], v[26:27], v[38:39]
	v_add_f64 v[10:11], v[10:11], v[30:31]
	v_fma_f64 v[30:31], v[8:9], s[4:5], v[22:23]
	v_fma_f64 v[8:9], v[8:9], s[6:7], v[22:23]
	v_add_f64 v[14:15], v[6:7], v[14:15]
	v_fma_f64 v[22:23], v[4:5], s[4:5], v[18:19]
	v_fma_f64 v[18:19], v[4:5], s[6:7], v[18:19]
	;; [unrolled: 3-line block ×3, first 2 shown]
	v_add_u32_e32 v38, 27, v73
	s_waitcnt lgkmcnt(0)
	; wave barrier
	s_waitcnt lgkmcnt(0)
	ds_write2_b64 v32, v[26:27], v[36:37] offset1:1
	ds_write_b64 v32, v[20:21] offset:16
	ds_write2_b64 v16, v[10:11], v[30:31] offset1:1
	ds_write_b64 v16, v[8:9] offset:16
	;; [unrolled: 2-line block ×3, first 2 shown]
	s_and_saveexec_b64 s[4:5], s[0:1]
	s_cbranch_execz .LBB0_20
; %bb.19:
	v_mul_u32_u24_e32 v8, 24, v38
	v_add3_u32 v8, 0, v8, v79
	ds_write2_b64 v8, v[4:5], v[6:7] offset1:1
	ds_write_b64 v8, v[42:43] offset:16
.LBB0_20:
	s_or_b64 exec, exec, s[4:5]
	s_waitcnt lgkmcnt(0)
	; wave barrier
	s_waitcnt lgkmcnt(0)
	ds_read2_b64 v[16:19], v33 offset0:30 offset1:39
	ds_read2_b64 v[12:15], v33 offset0:48 offset1:60
	;; [unrolled: 1-line block ×3, first 2 shown]
	ds_read_b64 v[24:25], v75
	ds_read_b64 v[22:23], v76
	;; [unrolled: 1-line block ×3, first 2 shown]
	s_and_saveexec_b64 s[4:5], s[0:1]
	s_cbranch_execz .LBB0_22
; %bb.21:
	ds_read2_b64 v[4:7], v33 offset0:27 offset1:57
	ds_read_b64 v[42:43], v33 offset:696
.LBB0_22:
	s_or_b64 exec, exec, s[4:5]
	s_movk_i32 s4, 0xab
	v_mul_lo_u16_sdwa v26, v73, s4 dst_sel:DWORD dst_unused:UNUSED_PAD src0_sel:BYTE_0 src1_sel:DWORD
	v_lshrrev_b16_e32 v81, 9, v26
	v_mul_lo_u16_e32 v26, 3, v81
	v_sub_u16_e32 v82, v73, v26
	v_mov_b32_e32 v39, 5
	v_lshlrev_b32_sdwa v26, v39, v82 dst_sel:DWORD dst_unused:UNUSED_PAD src0_sel:DWORD src1_sel:BYTE_0
	global_load_dwordx4 v[30:33], v26, s[8:9] offset:16
	global_load_dwordx4 v[34:37], v26, s[8:9]
	s_mov_b32 s7, 0x3febb67a
	s_movk_i32 s10, 0x48
	s_waitcnt vmcnt(0)
	v_mul_f64 v[28:29], v[60:61], v[36:37]
	s_waitcnt lgkmcnt(5)
	v_mul_f64 v[26:27], v[16:17], v[36:37]
	v_fma_f64 v[28:29], v[16:17], v[34:35], -v[28:29]
	s_waitcnt lgkmcnt(4)
	v_mul_f64 v[16:17], v[14:15], v[32:33]
	v_mul_f64 v[32:33], v[54:55], v[32:33]
	v_fma_f64 v[26:27], v[60:61], v[34:35], v[26:27]
	v_fma_f64 v[16:17], v[54:55], v[30:31], v[16:17]
	v_fma_f64 v[14:15], v[14:15], v[30:31], -v[32:33]
	v_mul_lo_u16_sdwa v30, v77, s4 dst_sel:DWORD dst_unused:UNUSED_PAD src0_sel:BYTE_0 src1_sel:DWORD
	v_lshrrev_b16_e32 v83, 9, v30
	v_mul_lo_u16_e32 v30, 3, v83
	v_sub_u16_e32 v77, v77, v30
	v_lshlrev_b32_sdwa v30, v39, v77 dst_sel:DWORD dst_unused:UNUSED_PAD src0_sel:DWORD src1_sel:BYTE_0
	global_load_dwordx4 v[34:37], v30, s[8:9] offset:16
	global_load_dwordx4 v[44:47], v30, s[8:9]
	s_waitcnt vmcnt(0)
	v_mul_f64 v[32:33], v[62:63], v[46:47]
	v_mul_f64 v[30:31], v[18:19], v[46:47]
	v_fma_f64 v[18:19], v[18:19], v[44:45], -v[32:33]
	s_waitcnt lgkmcnt(3)
	v_mul_f64 v[32:33], v[8:9], v[36:37]
	v_mul_f64 v[36:37], v[56:57], v[36:37]
	v_fma_f64 v[30:31], v[62:63], v[44:45], v[30:31]
	v_fma_f64 v[32:33], v[56:57], v[34:35], v[32:33]
	v_fma_f64 v[8:9], v[8:9], v[34:35], -v[36:37]
	v_mul_lo_u16_sdwa v34, v74, s4 dst_sel:DWORD dst_unused:UNUSED_PAD src0_sel:BYTE_0 src1_sel:DWORD
	v_lshrrev_b16_e32 v63, 9, v34
	v_mul_lo_u16_e32 v34, 3, v63
	v_sub_u16_e32 v74, v74, v34
	v_lshlrev_b32_sdwa v34, v39, v74 dst_sel:DWORD dst_unused:UNUSED_PAD src0_sel:DWORD src1_sel:BYTE_0
	global_load_dwordx4 v[44:47], v34, s[8:9] offset:16
	global_load_dwordx4 v[48:51], v34, s[8:9]
	v_add_f64 v[55:56], v[18:19], -v[8:9]
	s_waitcnt vmcnt(0)
	v_mul_f64 v[36:37], v[52:53], v[50:51]
	v_mul_f64 v[34:35], v[12:13], v[50:51]
	v_fma_f64 v[12:13], v[12:13], v[48:49], -v[36:37]
	v_mul_f64 v[36:37], v[10:11], v[46:47]
	v_mul_f64 v[46:47], v[58:59], v[46:47]
	v_fma_f64 v[34:35], v[52:53], v[48:49], v[34:35]
	v_fma_f64 v[36:37], v[58:59], v[44:45], v[36:37]
	v_fma_f64 v[10:11], v[10:11], v[44:45], -v[46:47]
	v_mul_lo_u16_sdwa v44, v38, s4 dst_sel:DWORD dst_unused:UNUSED_PAD src0_sel:BYTE_0 src1_sel:DWORD
	v_lshrrev_b16_e32 v44, 9, v44
	v_mul_lo_u16_e32 v44, 3, v44
	v_sub_u16_e32 v48, v38, v44
	v_lshlrev_b32_sdwa v38, v39, v48 dst_sel:DWORD dst_unused:UNUSED_PAD src0_sel:DWORD src1_sel:BYTE_0
	global_load_dwordx4 v[49:52], v38, s[8:9] offset:16
	global_load_dwordx4 v[44:47], v38, s[8:9]
	s_mov_b32 s4, 0xe8584caa
	s_mov_b32 s5, 0xbfebb67a
	;; [unrolled: 1-line block ×3, first 2 shown]
	s_waitcnt lgkmcnt(0)
	; wave barrier
	s_waitcnt vmcnt(0) lgkmcnt(0)
	v_mul_f64 v[38:39], v[6:7], v[46:47]
	v_fma_f64 v[38:39], v[2:3], v[44:45], v[38:39]
	v_mul_f64 v[2:3], v[2:3], v[46:47]
	v_fma_f64 v[44:45], v[6:7], v[44:45], -v[2:3]
	v_mul_f64 v[2:3], v[42:43], v[51:52]
	v_fma_f64 v[46:47], v[68:69], v[49:50], v[2:3]
	v_mul_f64 v[2:3], v[68:69], v[51:52]
	v_fma_f64 v[42:43], v[42:43], v[49:50], -v[2:3]
	v_add_f64 v[2:3], v[70:71], v[26:27]
	v_add_f64 v[49:50], v[28:29], -v[14:15]
	v_add_f64 v[6:7], v[2:3], v[16:17]
	v_add_f64 v[2:3], v[26:27], v[16:17]
	v_fma_f64 v[2:3], v[2:3], -0.5, v[70:71]
	v_fma_f64 v[51:52], v[49:50], s[4:5], v[2:3]
	v_fma_f64 v[49:50], v[49:50], s[6:7], v[2:3]
	v_add_f64 v[2:3], v[66:67], v[30:31]
	v_add_f64 v[53:54], v[2:3], v[32:33]
	;; [unrolled: 1-line block ×3, first 2 shown]
	v_fma_f64 v[2:3], v[2:3], -0.5, v[66:67]
	v_fma_f64 v[57:58], v[55:56], s[4:5], v[2:3]
	v_fma_f64 v[55:56], v[55:56], s[6:7], v[2:3]
	v_add_f64 v[2:3], v[40:41], v[34:35]
	v_add_f64 v[59:60], v[2:3], v[36:37]
	;; [unrolled: 1-line block ×3, first 2 shown]
	v_fma_f64 v[2:3], v[2:3], -0.5, v[40:41]
	v_add_f64 v[40:41], v[12:13], -v[10:11]
	v_fma_f64 v[61:62], v[40:41], s[4:5], v[2:3]
	v_fma_f64 v[66:67], v[40:41], s[6:7], v[2:3]
	v_mov_b32_e32 v2, 3
	v_mad_u32_u24 v3, v81, s10, 0
	v_lshlrev_b32_sdwa v40, v2, v82 dst_sel:DWORD dst_unused:UNUSED_PAD src0_sel:DWORD src1_sel:BYTE_0
	v_add3_u32 v40, v3, v40, v79
	ds_write2_b64 v40, v[6:7], v[51:52] offset1:3
	ds_write_b64 v40, v[49:50] offset:48
	v_mad_u32_u24 v3, v83, s10, 0
	v_lshlrev_b32_sdwa v6, v2, v77 dst_sel:DWORD dst_unused:UNUSED_PAD src0_sel:DWORD src1_sel:BYTE_0
	v_add3_u32 v41, v3, v6, v79
	v_mad_u32_u24 v3, v63, s10, 0
	v_lshlrev_b32_sdwa v6, v2, v74 dst_sel:DWORD dst_unused:UNUSED_PAD src0_sel:DWORD src1_sel:BYTE_0
	v_add3_u32 v49, v3, v6, v79
	ds_write2_b64 v41, v[53:54], v[57:58] offset1:3
	ds_write_b64 v41, v[55:56] offset:48
	ds_write2_b64 v49, v[59:60], v[61:62] offset1:3
	ds_write_b64 v49, v[66:67] offset:48
	s_and_saveexec_b64 s[10:11], s[0:1]
	s_cbranch_execz .LBB0_24
; %bb.23:
	v_add_f64 v[6:7], v[38:39], v[46:47]
	v_add_f64 v[50:51], v[44:45], -v[42:43]
	v_add_f64 v[52:53], v[0:1], v[38:39]
	v_lshlrev_b32_sdwa v2, v2, v48 dst_sel:DWORD dst_unused:UNUSED_PAD src0_sel:DWORD src1_sel:BYTE_0
	v_add3_u32 v2, 0, v2, v79
	v_fma_f64 v[0:1], v[6:7], -0.5, v[0:1]
	v_add_f64 v[6:7], v[52:53], v[46:47]
	v_fma_f64 v[52:53], v[50:51], s[4:5], v[0:1]
	v_fma_f64 v[0:1], v[50:51], s[6:7], v[0:1]
	ds_write2_b64 v2, v[6:7], v[52:53] offset0:81 offset1:84
	ds_write_b64 v2, v[0:1] offset:696
.LBB0_24:
	s_or_b64 exec, exec, s[10:11]
	v_add_f64 v[0:1], v[28:29], v[14:15]
	v_add_f64 v[2:3], v[18:19], v[8:9]
	;; [unrolled: 1-line block ×6, first 2 shown]
	v_add_f64 v[16:17], v[26:27], -v[16:17]
	s_waitcnt lgkmcnt(0)
	v_fma_f64 v[0:1], v[0:1], -0.5, v[24:25]
	v_fma_f64 v[2:3], v[2:3], -0.5, v[22:23]
	v_add_f64 v[22:23], v[34:35], -v[36:37]
	v_fma_f64 v[20:21], v[28:29], -0.5, v[20:21]
	v_add_f64 v[24:25], v[30:31], -v[32:33]
	v_add_f64 v[26:27], v[6:7], v[14:15]
	v_add_f64 v[28:29], v[18:19], v[8:9]
	;; [unrolled: 1-line block ×3, first 2 shown]
	v_fma_f64 v[30:31], v[16:17], s[6:7], v[0:1]
	v_fma_f64 v[32:33], v[16:17], s[4:5], v[0:1]
	; wave barrier
	v_fma_f64 v[50:51], v[22:23], s[6:7], v[20:21]
	v_fma_f64 v[52:53], v[22:23], s[4:5], v[20:21]
	v_add3_u32 v22, 0, v80, v79
	v_fma_f64 v[34:35], v[24:25], s[6:7], v[2:3]
	v_fma_f64 v[24:25], v[24:25], s[4:5], v[2:3]
	ds_read2_b64 v[0:3], v22 offset0:27 offset1:36
	ds_read2_b64 v[10:13], v22 offset0:45 offset1:54
	;; [unrolled: 1-line block ×3, first 2 shown]
	ds_read_b64 v[14:15], v75
	ds_read_b64 v[16:17], v76
	;; [unrolled: 1-line block ×3, first 2 shown]
	ds_read_b64 v[18:19], v22 offset:648
	s_waitcnt lgkmcnt(0)
	; wave barrier
	s_waitcnt lgkmcnt(0)
	ds_write2_b64 v40, v[26:27], v[30:31] offset1:3
	ds_write_b64 v40, v[32:33] offset:48
	ds_write2_b64 v41, v[28:29], v[34:35] offset1:3
	ds_write_b64 v41, v[24:25] offset:48
	;; [unrolled: 2-line block ×3, first 2 shown]
	s_and_saveexec_b64 s[4:5], s[0:1]
	s_cbranch_execz .LBB0_26
; %bb.25:
	v_add_f64 v[23:24], v[44:45], v[42:43]
	v_add_f64 v[25:26], v[4:5], v[44:45]
	v_add_f64 v[27:28], v[38:39], -v[46:47]
	s_mov_b32 s1, 0x3febb67a
	s_mov_b32 s0, 0xe8584caa
	v_fma_f64 v[4:5], v[23:24], -0.5, v[4:5]
	v_add_f64 v[23:24], v[25:26], v[42:43]
	v_fma_f64 v[25:26], v[27:28], s[0:1], v[4:5]
	s_mov_b32 s1, 0xbfebb67a
	v_fma_f64 v[4:5], v[27:28], s[0:1], v[4:5]
	v_mov_b32_e32 v27, 3
	v_lshlrev_b32_sdwa v27, v27, v48 dst_sel:DWORD dst_unused:UNUSED_PAD src0_sel:DWORD src1_sel:BYTE_0
	v_add3_u32 v27, 0, v27, v79
	ds_write2_b64 v27, v[23:24], v[25:26] offset0:81 offset1:84
	ds_write_b64 v27, v[4:5] offset:696
.LBB0_26:
	s_or_b64 exec, exec, s[4:5]
	s_waitcnt lgkmcnt(0)
	; wave barrier
	s_waitcnt lgkmcnt(0)
	s_and_saveexec_b64 s[0:1], vcc
	s_cbranch_execz .LBB0_28
; %bb.27:
	v_mul_u32_u24_e32 v4, 9, v73
	v_lshlrev_b32_e32 v4, 4, v4
	global_load_dwordx4 v[23:26], v4, s[8:9] offset:112
	global_load_dwordx4 v[27:30], v4, s[8:9] offset:208
	;; [unrolled: 1-line block ×9, first 2 shown]
	ds_read_b64 v[4:5], v78
	ds_read_b64 v[70:71], v22 offset:648
	ds_read_b64 v[76:77], v76
	ds_read2_b64 v[59:62], v22 offset0:63 offset1:72
	ds_read2_b64 v[66:69], v22 offset0:27 offset1:36
	s_mov_b32 s4, 0x134454ff
	s_mov_b32 s5, 0xbfee6f0e
	s_mov_b32 s9, 0x3fee6f0e
	s_mov_b32 s8, s4
	s_mov_b32 s0, 0x4755a5e
	s_mov_b32 s1, 0xbfe2cf23
	s_mov_b32 s7, 0x3fe2cf23
	s_mov_b32 s6, s0
	s_mov_b32 s10, 0x372fe950
	s_mov_b32 s11, 0x3fd3c6ef
	s_mov_b32 s16, 0x9b97f4a8
	s_mov_b32 s17, 0xbfe9e377
	s_mov_b32 s19, 0x3fe9e377
	s_mov_b32 s18, s16
	s_mov_b32 s15, 0xbfd3c6ef
	s_mov_b32 s14, s10
	s_waitcnt vmcnt(8)
	v_mul_f64 v[73:74], v[20:21], v[25:26]
	s_waitcnt lgkmcnt(4)
	v_mul_f64 v[25:26], v[4:5], v[25:26]
	v_fma_f64 v[4:5], v[4:5], v[23:24], -v[73:74]
	s_waitcnt vmcnt(7)
	v_mul_f64 v[73:74], v[8:9], v[29:30]
	v_fma_f64 v[24:25], v[20:21], v[23:24], v[25:26]
	s_waitcnt lgkmcnt(1)
	v_mul_f64 v[20:21], v[61:62], v[29:30]
	s_waitcnt vmcnt(6)
	v_mul_f64 v[29:30], v[2:3], v[33:34]
	s_waitcnt lgkmcnt(0)
	v_mul_f64 v[33:34], v[68:69], v[33:34]
	v_fma_f64 v[61:62], v[61:62], v[27:28], -v[73:74]
	v_fma_f64 v[8:9], v[8:9], v[27:28], v[20:21]
	ds_read2_b64 v[20:23], v22 offset0:45 offset1:54
	ds_read_b64 v[26:27], v75
	v_fma_f64 v[28:29], v[68:69], v[31:32], -v[29:30]
	v_fma_f64 v[30:31], v[2:3], v[31:32], v[33:34]
	s_waitcnt vmcnt(5)
	v_mul_f64 v[2:3], v[12:13], v[37:38]
	s_waitcnt lgkmcnt(1)
	v_mul_f64 v[32:33], v[22:23], v[37:38]
	s_waitcnt vmcnt(0)
	v_mul_f64 v[68:69], v[16:17], v[55:56]
	v_mul_f64 v[16:17], v[16:17], v[57:58]
	v_add_f64 v[73:74], v[28:29], -v[4:5]
	v_fma_f64 v[22:23], v[22:23], v[35:36], -v[2:3]
	v_fma_f64 v[12:13], v[12:13], v[35:36], v[32:33]
	v_mul_f64 v[2:3], v[0:1], v[39:40]
	v_mul_f64 v[32:33], v[10:11], v[43:44]
	;; [unrolled: 1-line block ×8, first 2 shown]
	v_fma_f64 v[41:42], v[66:67], v[41:42], v[2:3]
	v_fma_f64 v[32:33], v[20:21], v[45:46], v[32:33]
	v_fma_f64 v[2:3], v[20:21], v[43:44], -v[10:11]
	v_fma_f64 v[34:35], v[59:60], v[49:50], v[34:35]
	v_fma_f64 v[6:7], v[59:60], v[47:48], -v[6:7]
	;; [unrolled: 2-line block ×3, first 2 shown]
	v_fma_f64 v[18:19], v[70:71], v[51:52], -v[18:19]
	v_add_f64 v[20:21], v[4:5], -v[28:29]
	v_add_f64 v[38:39], v[61:62], -v[22:23]
	v_fma_f64 v[10:11], v[76:77], v[57:58], v[68:69]
	v_fma_f64 v[16:17], v[76:77], v[55:56], -v[16:17]
	v_add_f64 v[49:50], v[41:42], -v[32:33]
	v_add_f64 v[51:52], v[36:37], -v[34:35]
	;; [unrolled: 1-line block ×7, first 2 shown]
	v_add_f64 v[20:21], v[20:21], v[38:39]
	v_add_f64 v[38:39], v[4:5], v[61:62]
	v_add_f64 v[43:44], v[28:29], v[22:23]
	v_add_f64 v[47:48], v[30:31], -v[12:13]
	v_add_f64 v[59:60], v[59:60], v[66:67]
	v_add_f64 v[66:67], v[41:42], v[36:37]
	v_add_f64 v[53:54], v[2:3], -v[6:7]
	v_add_f64 v[55:56], v[32:33], v[34:35]
	v_add_f64 v[57:58], v[0:1], -v[18:19]
	v_add_f64 v[68:69], v[2:3], v[6:7]
	v_add_f64 v[49:50], v[49:50], v[51:52]
	;; [unrolled: 1-line block ×4, first 2 shown]
	v_add_f64 v[75:76], v[2:3], -v[0:1]
	v_add_f64 v[77:78], v[77:78], v[79:80]
	v_add_f64 v[79:80], v[6:7], -v[18:19]
	s_waitcnt lgkmcnt(0)
	v_fma_f64 v[38:39], v[38:39], -0.5, v[26:27]
	v_add_f64 v[0:1], v[0:1], v[18:19]
	v_fma_f64 v[66:67], v[66:67], -0.5, v[10:11]
	v_add_f64 v[45:46], v[24:25], -v[8:9]
	v_add_f64 v[70:71], v[41:42], -v[36:37]
	v_add_f64 v[2:3], v[2:3], v[51:52]
	v_add_f64 v[51:52], v[32:33], -v[34:35]
	v_fma_f64 v[43:44], v[43:44], -0.5, v[26:27]
	v_fma_f64 v[55:56], v[55:56], -0.5, v[10:11]
	;; [unrolled: 1-line block ×3, first 2 shown]
	v_add_f64 v[75:76], v[75:76], v[79:80]
	v_fma_f64 v[79:80], v[47:48], s[8:9], v[38:39]
	v_fma_f64 v[38:39], v[47:48], s[4:5], v[38:39]
	v_fma_f64 v[0:1], v[0:1], -0.5, v[16:17]
	v_fma_f64 v[16:17], v[53:54], s[4:5], v[66:67]
	v_fma_f64 v[66:67], v[53:54], s[8:9], v[66:67]
	v_add_f64 v[81:82], v[6:7], v[2:3]
	v_fma_f64 v[2:3], v[45:46], s[4:5], v[43:44]
	v_fma_f64 v[6:7], v[45:46], s[8:9], v[43:44]
	;; [unrolled: 1-line block ×11, first 2 shown]
	v_add_f64 v[26:27], v[4:5], v[26:27]
	v_fma_f64 v[68:69], v[70:71], s[8:9], v[68:69]
	v_fma_f64 v[2:3], v[47:48], s[0:1], v[2:3]
	;; [unrolled: 1-line block ×7, first 2 shown]
	v_add_f64 v[26:27], v[28:29], v[26:27]
	v_fma_f64 v[53:54], v[53:54], s[0:1], v[55:56]
	v_fma_f64 v[51:52], v[51:52], s[6:7], v[68:69]
	;; [unrolled: 1-line block ×3, first 2 shown]
	v_add_f64 v[4:5], v[4:5], -v[61:62]
	v_fma_f64 v[66:67], v[75:76], s[10:11], v[66:67]
	v_add_f64 v[10:11], v[41:42], v[10:11]
	v_fma_f64 v[47:48], v[59:60], s[10:11], v[70:71]
	v_add_f64 v[70:71], v[30:31], v[12:13]
	v_add_f64 v[26:27], v[22:23], v[26:27]
	v_add_f64 v[22:23], v[28:29], -v[22:23]
	v_add_f64 v[28:29], v[24:25], v[8:9]
	v_fma_f64 v[49:50], v[49:50], s[10:11], v[53:54]
	v_fma_f64 v[51:52], v[59:60], s[10:11], v[51:52]
	v_add_f64 v[59:60], v[18:19], v[81:82]
	v_add_f64 v[18:19], v[24:25], -v[30:31]
	v_fma_f64 v[70:71], v[70:71], -0.5, v[14:15]
	v_add_f64 v[53:54], v[61:62], v[26:27]
	v_add_f64 v[26:27], v[8:9], -v[12:13]
	v_mul_f64 v[55:56], v[47:48], s[16:17]
	v_mul_f64 v[47:48], v[47:48], s[0:1]
	v_fma_f64 v[28:29], v[28:29], -0.5, v[14:15]
	v_add_f64 v[14:15], v[14:15], v[24:25]
	v_fma_f64 v[16:17], v[77:78], s[10:11], v[16:17]
	v_fma_f64 v[61:62], v[4:5], s[8:9], v[70:71]
	v_mul_f64 v[68:69], v[66:67], s[14:15]
	v_add_f64 v[18:19], v[18:19], v[26:27]
	v_mul_f64 v[26:27], v[51:52], s[18:19]
	v_fma_f64 v[55:56], v[45:46], s[6:7], v[55:56]
	v_fma_f64 v[45:46], v[45:46], s[16:17], v[47:48]
	v_add_f64 v[47:48], v[30:31], -v[24:25]
	v_add_f64 v[24:25], v[12:13], -v[8:9]
	v_fma_f64 v[40:41], v[22:23], s[4:5], v[28:29]
	v_fma_f64 v[0:1], v[75:76], s[10:11], v[0:1]
	;; [unrolled: 1-line block ×5, first 2 shown]
	v_add_f64 v[14:15], v[14:15], v[30:31]
	v_add_f64 v[10:11], v[32:33], v[10:11]
	v_add_f64 v[24:25], v[47:48], v[24:25]
	v_fma_f64 v[30:31], v[4:5], s[6:7], v[40:41]
	v_mul_f64 v[32:33], v[66:67], s[4:5]
	v_fma_f64 v[43:44], v[73:74], s[10:11], v[43:44]
	v_fma_f64 v[68:69], v[16:17], s[8:9], v[68:69]
	;; [unrolled: 1-line block ×5, first 2 shown]
	v_mul_f64 v[26:27], v[51:52], s[0:1]
	v_fma_f64 v[38:39], v[73:74], s[10:11], v[38:39]
	v_fma_f64 v[57:58], v[77:78], s[10:11], v[57:58]
	v_mul_f64 v[73:74], v[0:1], s[10:11]
	v_add_f64 v[12:13], v[14:15], v[12:13]
	v_add_f64 v[10:11], v[34:35], v[10:11]
	v_fma_f64 v[79:80], v[20:21], s[10:11], v[2:3]
	v_fma_f64 v[20:21], v[20:21], s[10:11], v[6:7]
	v_mul_f64 v[0:1], v[0:1], s[4:5]
	v_fma_f64 v[40:41], v[24:25], s[10:11], v[30:31]
	v_fma_f64 v[32:33], v[16:17], s[14:15], v[32:33]
	v_add_f64 v[6:7], v[43:44], -v[68:69]
	v_fma_f64 v[22:23], v[22:23], s[0:1], v[61:62]
	v_fma_f64 v[49:50], v[49:50], s[18:19], v[26:27]
	v_add_f64 v[26:27], v[43:44], v[68:69]
	v_mad_u64_u32 v[42:43], s[0:1], s2, v72, 0
	v_fma_f64 v[73:74], v[57:58], s[8:9], v[73:74]
	v_add_f64 v[61:62], v[8:9], v[12:13]
	v_add_f64 v[36:37], v[36:37], v[10:11]
	v_fma_f64 v[51:52], v[57:58], s[10:11], v[0:1]
	v_add_f64 v[14:15], v[20:21], -v[75:76]
	v_add_f64 v[0:1], v[28:29], -v[45:46]
	v_add_f64 v[34:35], v[20:21], v[75:76]
	v_add_f64 v[20:21], v[28:29], v[45:46]
	v_mov_b32_e32 v28, v43
	v_fma_f64 v[47:48], v[24:25], s[10:11], v[4:5]
	v_add_f64 v[4:5], v[40:41], -v[32:33]
	v_add_f64 v[24:25], v[40:41], v[32:33]
	v_mad_u64_u32 v[40:41], s[0:1], s3, v72, v[28:29]
	v_add_u32_e32 v45, 9, v72
	v_add_f64 v[10:11], v[38:39], -v[73:74]
	v_add_f64 v[16:17], v[61:62], -v[36:37]
	v_add_f64 v[30:31], v[38:39], v[73:74]
	v_add_f64 v[38:39], v[53:54], v[59:60]
	;; [unrolled: 1-line block ×3, first 2 shown]
	v_mov_b32_e32 v43, v40
	v_mad_u64_u32 v[40:41], s[0:1], s2, v45, 0
	v_fma_f64 v[57:58], v[18:19], s[10:11], v[22:23]
	v_lshlrev_b64 v[42:43], 4, v[42:43]
	v_mov_b32_e32 v44, s13
	v_add_co_u32_e32 v46, vcc, s12, v64
	v_add_f64 v[8:9], v[47:48], -v[51:52]
	v_add_f64 v[28:29], v[47:48], v[51:52]
	v_addc_co_u32_e32 v47, vcc, v44, v65, vcc
	v_mad_u64_u32 v[44:45], s[0:1], s3, v45, v[41:42]
	v_add_co_u32_e32 v41, vcc, v46, v42
	v_addc_co_u32_e32 v42, vcc, v47, v43, vcc
	global_store_dwordx4 v[41:42], v[36:39], off
	v_mov_b32_e32 v41, v44
	v_lshlrev_b64 v[36:37], 4, v[40:41]
	v_add_u32_e32 v40, 18, v72
	v_add_f64 v[32:33], v[57:58], v[49:50]
	v_mad_u64_u32 v[38:39], s[0:1], s2, v40, 0
	v_add_co_u32_e32 v36, vcc, v46, v36
	v_mad_u64_u32 v[39:40], s[0:1], s3, v40, v[39:40]
	v_add_u32_e32 v42, 27, v72
	v_addc_co_u32_e32 v37, vcc, v47, v37, vcc
	v_mad_u64_u32 v[40:41], s[0:1], s2, v42, 0
	global_store_dwordx4 v[36:37], v[32:35], off
	v_add_f64 v[22:23], v[79:80], v[55:56]
	v_lshlrev_b64 v[32:33], 4, v[38:39]
	v_mov_b32_e32 v34, v41
	v_add_co_u32_e32 v32, vcc, v46, v32
	v_addc_co_u32_e32 v33, vcc, v47, v33, vcc
	v_mad_u64_u32 v[34:35], s[0:1], s3, v42, v[34:35]
	global_store_dwordx4 v[32:33], v[28:31], off
	v_add_u32_e32 v32, 36, v72
	v_mad_u64_u32 v[30:31], s[0:1], s2, v32, 0
	v_mov_b32_e32 v41, v34
	v_lshlrev_b64 v[28:29], 4, v[40:41]
	v_mad_u64_u32 v[31:32], s[0:1], s3, v32, v[31:32]
	v_add_co_u32_e32 v28, vcc, v46, v28
	v_add_u32_e32 v34, 45, v72
	v_addc_co_u32_e32 v29, vcc, v47, v29, vcc
	v_mad_u64_u32 v[32:33], s[0:1], s2, v34, 0
	global_store_dwordx4 v[28:29], v[24:27], off
	v_add_f64 v[18:19], v[53:54], -v[59:60]
	v_lshlrev_b64 v[24:25], 4, v[30:31]
	v_mov_b32_e32 v26, v33
	v_add_co_u32_e32 v24, vcc, v46, v24
	v_addc_co_u32_e32 v25, vcc, v47, v25, vcc
	v_mad_u64_u32 v[26:27], s[0:1], s3, v34, v[26:27]
	global_store_dwordx4 v[24:25], v[20:23], off
	v_add_u32_e32 v24, 54, v72
	v_mad_u64_u32 v[22:23], s[0:1], s2, v24, 0
	v_mov_b32_e32 v33, v26
	v_add_f64 v[12:13], v[57:58], -v[49:50]
	v_lshlrev_b64 v[20:21], 4, v[32:33]
	v_mad_u64_u32 v[23:24], s[0:1], s3, v24, v[23:24]
	v_add_co_u32_e32 v20, vcc, v46, v20
	v_addc_co_u32_e32 v21, vcc, v47, v21, vcc
	v_add_u32_e32 v26, 63, v72
	v_mad_u64_u32 v[24:25], s[0:1], s2, v26, 0
	global_store_dwordx4 v[20:21], v[16:19], off
	v_add_f64 v[2:3], v[79:80], -v[55:56]
	v_lshlrev_b64 v[16:17], 4, v[22:23]
	v_mov_b32_e32 v18, v25
	v_add_co_u32_e32 v16, vcc, v46, v16
	v_addc_co_u32_e32 v17, vcc, v47, v17, vcc
	global_store_dwordx4 v[16:17], v[12:15], off
	v_add_u32_e32 v16, 0x48, v72
	v_mad_u64_u32 v[18:19], s[0:1], s3, v26, v[18:19]
	v_mad_u64_u32 v[14:15], s[0:1], s2, v16, 0
	v_mov_b32_e32 v25, v18
	v_add_u32_e32 v18, 0x51, v72
	v_mad_u64_u32 v[15:16], s[0:1], s3, v16, v[15:16]
	v_lshlrev_b64 v[12:13], 4, v[24:25]
	v_mad_u64_u32 v[16:17], s[0:1], s2, v18, 0
	v_add_co_u32_e32 v12, vcc, v46, v12
	v_addc_co_u32_e32 v13, vcc, v47, v13, vcc
	global_store_dwordx4 v[12:13], v[8:11], off
	s_nop 0
	v_mov_b32_e32 v10, v17
	v_mad_u64_u32 v[10:11], s[0:1], s3, v18, v[10:11]
	v_lshlrev_b64 v[8:9], 4, v[14:15]
	v_add_co_u32_e32 v8, vcc, v46, v8
	v_addc_co_u32_e32 v9, vcc, v47, v9, vcc
	v_mov_b32_e32 v17, v10
	global_store_dwordx4 v[8:9], v[4:7], off
	s_nop 0
	v_lshlrev_b64 v[4:5], 4, v[16:17]
	v_add_co_u32_e32 v4, vcc, v46, v4
	v_addc_co_u32_e32 v5, vcc, v47, v5, vcc
	global_store_dwordx4 v[4:5], v[0:3], off
.LBB0_28:
	s_endpgm
	.section	.rodata,"a",@progbits
	.p2align	6, 0x0
	.amdhsa_kernel fft_rtc_back_len90_factors_3_3_10_wgs_63_tpt_9_halfLds_dp_ip_CI_sbrr_dirReg
		.amdhsa_group_segment_fixed_size 0
		.amdhsa_private_segment_fixed_size 0
		.amdhsa_kernarg_size 88
		.amdhsa_user_sgpr_count 6
		.amdhsa_user_sgpr_private_segment_buffer 1
		.amdhsa_user_sgpr_dispatch_ptr 0
		.amdhsa_user_sgpr_queue_ptr 0
		.amdhsa_user_sgpr_kernarg_segment_ptr 1
		.amdhsa_user_sgpr_dispatch_id 0
		.amdhsa_user_sgpr_flat_scratch_init 0
		.amdhsa_user_sgpr_private_segment_size 0
		.amdhsa_uses_dynamic_stack 0
		.amdhsa_system_sgpr_private_segment_wavefront_offset 0
		.amdhsa_system_sgpr_workgroup_id_x 1
		.amdhsa_system_sgpr_workgroup_id_y 0
		.amdhsa_system_sgpr_workgroup_id_z 0
		.amdhsa_system_sgpr_workgroup_info 0
		.amdhsa_system_vgpr_workitem_id 0
		.amdhsa_next_free_vgpr 84
		.amdhsa_next_free_sgpr 24
		.amdhsa_reserve_vcc 1
		.amdhsa_reserve_flat_scratch 0
		.amdhsa_float_round_mode_32 0
		.amdhsa_float_round_mode_16_64 0
		.amdhsa_float_denorm_mode_32 3
		.amdhsa_float_denorm_mode_16_64 3
		.amdhsa_dx10_clamp 1
		.amdhsa_ieee_mode 1
		.amdhsa_fp16_overflow 0
		.amdhsa_exception_fp_ieee_invalid_op 0
		.amdhsa_exception_fp_denorm_src 0
		.amdhsa_exception_fp_ieee_div_zero 0
		.amdhsa_exception_fp_ieee_overflow 0
		.amdhsa_exception_fp_ieee_underflow 0
		.amdhsa_exception_fp_ieee_inexact 0
		.amdhsa_exception_int_div_zero 0
	.end_amdhsa_kernel
	.text
.Lfunc_end0:
	.size	fft_rtc_back_len90_factors_3_3_10_wgs_63_tpt_9_halfLds_dp_ip_CI_sbrr_dirReg, .Lfunc_end0-fft_rtc_back_len90_factors_3_3_10_wgs_63_tpt_9_halfLds_dp_ip_CI_sbrr_dirReg
                                        ; -- End function
	.section	.AMDGPU.csdata,"",@progbits
; Kernel info:
; codeLenInByte = 6552
; NumSgprs: 28
; NumVgprs: 84
; ScratchSize: 0
; MemoryBound: 1
; FloatMode: 240
; IeeeMode: 1
; LDSByteSize: 0 bytes/workgroup (compile time only)
; SGPRBlocks: 3
; VGPRBlocks: 20
; NumSGPRsForWavesPerEU: 28
; NumVGPRsForWavesPerEU: 84
; Occupancy: 3
; WaveLimiterHint : 1
; COMPUTE_PGM_RSRC2:SCRATCH_EN: 0
; COMPUTE_PGM_RSRC2:USER_SGPR: 6
; COMPUTE_PGM_RSRC2:TRAP_HANDLER: 0
; COMPUTE_PGM_RSRC2:TGID_X_EN: 1
; COMPUTE_PGM_RSRC2:TGID_Y_EN: 0
; COMPUTE_PGM_RSRC2:TGID_Z_EN: 0
; COMPUTE_PGM_RSRC2:TIDIG_COMP_CNT: 0
	.type	__hip_cuid_f095b059b223c4ba,@object ; @__hip_cuid_f095b059b223c4ba
	.section	.bss,"aw",@nobits
	.globl	__hip_cuid_f095b059b223c4ba
__hip_cuid_f095b059b223c4ba:
	.byte	0                               ; 0x0
	.size	__hip_cuid_f095b059b223c4ba, 1

	.ident	"AMD clang version 19.0.0git (https://github.com/RadeonOpenCompute/llvm-project roc-6.4.0 25133 c7fe45cf4b819c5991fe208aaa96edf142730f1d)"
	.section	".note.GNU-stack","",@progbits
	.addrsig
	.addrsig_sym __hip_cuid_f095b059b223c4ba
	.amdgpu_metadata
---
amdhsa.kernels:
  - .args:
      - .actual_access:  read_only
        .address_space:  global
        .offset:         0
        .size:           8
        .value_kind:     global_buffer
      - .offset:         8
        .size:           8
        .value_kind:     by_value
      - .actual_access:  read_only
        .address_space:  global
        .offset:         16
        .size:           8
        .value_kind:     global_buffer
      - .actual_access:  read_only
        .address_space:  global
        .offset:         24
        .size:           8
        .value_kind:     global_buffer
      - .offset:         32
        .size:           8
        .value_kind:     by_value
      - .actual_access:  read_only
        .address_space:  global
        .offset:         40
        .size:           8
        .value_kind:     global_buffer
      - .actual_access:  read_only
        .address_space:  global
        .offset:         48
        .size:           8
        .value_kind:     global_buffer
      - .offset:         56
        .size:           4
        .value_kind:     by_value
      - .actual_access:  read_only
        .address_space:  global
        .offset:         64
        .size:           8
        .value_kind:     global_buffer
      - .actual_access:  read_only
        .address_space:  global
        .offset:         72
        .size:           8
        .value_kind:     global_buffer
      - .address_space:  global
        .offset:         80
        .size:           8
        .value_kind:     global_buffer
    .group_segment_fixed_size: 0
    .kernarg_segment_align: 8
    .kernarg_segment_size: 88
    .language:       OpenCL C
    .language_version:
      - 2
      - 0
    .max_flat_workgroup_size: 63
    .name:           fft_rtc_back_len90_factors_3_3_10_wgs_63_tpt_9_halfLds_dp_ip_CI_sbrr_dirReg
    .private_segment_fixed_size: 0
    .sgpr_count:     28
    .sgpr_spill_count: 0
    .symbol:         fft_rtc_back_len90_factors_3_3_10_wgs_63_tpt_9_halfLds_dp_ip_CI_sbrr_dirReg.kd
    .uniform_work_group_size: 1
    .uses_dynamic_stack: false
    .vgpr_count:     84
    .vgpr_spill_count: 0
    .wavefront_size: 64
amdhsa.target:   amdgcn-amd-amdhsa--gfx906
amdhsa.version:
  - 1
  - 2
...

	.end_amdgpu_metadata
